;; amdgpu-corpus repo=ROCm/rocFFT kind=compiled arch=gfx906 opt=O3
	.text
	.amdgcn_target "amdgcn-amd-amdhsa--gfx906"
	.amdhsa_code_object_version 6
	.protected	fft_rtc_back_len156_factors_3_4_13_wgs_117_tpt_13_dp_ip_CI_unitstride_sbrr_dirReg ; -- Begin function fft_rtc_back_len156_factors_3_4_13_wgs_117_tpt_13_dp_ip_CI_unitstride_sbrr_dirReg
	.globl	fft_rtc_back_len156_factors_3_4_13_wgs_117_tpt_13_dp_ip_CI_unitstride_sbrr_dirReg
	.p2align	8
	.type	fft_rtc_back_len156_factors_3_4_13_wgs_117_tpt_13_dp_ip_CI_unitstride_sbrr_dirReg,@function
fft_rtc_back_len156_factors_3_4_13_wgs_117_tpt_13_dp_ip_CI_unitstride_sbrr_dirReg: ; @fft_rtc_back_len156_factors_3_4_13_wgs_117_tpt_13_dp_ip_CI_unitstride_sbrr_dirReg
; %bb.0:
	v_mul_u32_u24_e32 v1, 0x13b2, v0
	s_load_dwordx2 s[2:3], s[4:5], 0x50
	s_load_dwordx4 s[8:11], s[4:5], 0x0
	s_load_dwordx2 s[12:13], s[4:5], 0x18
	v_lshrrev_b32_e32 v1, 16, v1
	v_mad_u64_u32 v[48:49], s[0:1], s6, 9, v[1:2]
	v_mov_b32_e32 v3, 0
	s_waitcnt lgkmcnt(0)
	v_cmp_lt_u64_e64 s[0:1], s[10:11], 2
	v_mov_b32_e32 v49, v3
	v_mov_b32_e32 v1, 0
	;; [unrolled: 1-line block ×3, first 2 shown]
	s_and_b64 vcc, exec, s[0:1]
	v_mov_b32_e32 v2, 0
	v_mov_b32_e32 v8, v49
	s_cbranch_vccnz .LBB0_8
; %bb.1:
	s_load_dwordx2 s[0:1], s[4:5], 0x10
	s_add_u32 s6, s12, 8
	s_addc_u32 s7, s13, 0
	v_mov_b32_e32 v1, 0
	v_mov_b32_e32 v5, v48
	s_waitcnt lgkmcnt(0)
	s_add_u32 s16, s0, 8
	s_mov_b64 s[14:15], 1
	v_mov_b32_e32 v2, 0
	s_addc_u32 s17, s1, 0
	v_mov_b32_e32 v6, v49
.LBB0_2:                                ; =>This Inner Loop Header: Depth=1
	s_load_dwordx2 s[18:19], s[16:17], 0x0
                                        ; implicit-def: $vgpr7_vgpr8
	s_waitcnt lgkmcnt(0)
	v_or_b32_e32 v4, s19, v6
	v_cmp_ne_u64_e32 vcc, 0, v[3:4]
	s_and_saveexec_b64 s[0:1], vcc
	s_xor_b64 s[20:21], exec, s[0:1]
	s_cbranch_execz .LBB0_4
; %bb.3:                                ;   in Loop: Header=BB0_2 Depth=1
	v_cvt_f32_u32_e32 v4, s18
	v_cvt_f32_u32_e32 v7, s19
	s_sub_u32 s0, 0, s18
	s_subb_u32 s1, 0, s19
	v_mac_f32_e32 v4, 0x4f800000, v7
	v_rcp_f32_e32 v4, v4
	v_mul_f32_e32 v4, 0x5f7ffffc, v4
	v_mul_f32_e32 v7, 0x2f800000, v4
	v_trunc_f32_e32 v7, v7
	v_mac_f32_e32 v4, 0xcf800000, v7
	v_cvt_u32_f32_e32 v7, v7
	v_cvt_u32_f32_e32 v4, v4
	v_mul_lo_u32 v8, s0, v7
	v_mul_hi_u32 v9, s0, v4
	v_mul_lo_u32 v11, s1, v4
	v_mul_lo_u32 v10, s0, v4
	v_add_u32_e32 v8, v9, v8
	v_add_u32_e32 v8, v8, v11
	v_mul_hi_u32 v9, v4, v10
	v_mul_lo_u32 v11, v4, v8
	v_mul_hi_u32 v13, v4, v8
	v_mul_hi_u32 v12, v7, v10
	v_mul_lo_u32 v10, v7, v10
	v_mul_hi_u32 v14, v7, v8
	v_add_co_u32_e32 v9, vcc, v9, v11
	v_addc_co_u32_e32 v11, vcc, 0, v13, vcc
	v_mul_lo_u32 v8, v7, v8
	v_add_co_u32_e32 v9, vcc, v9, v10
	v_addc_co_u32_e32 v9, vcc, v11, v12, vcc
	v_addc_co_u32_e32 v10, vcc, 0, v14, vcc
	v_add_co_u32_e32 v8, vcc, v9, v8
	v_addc_co_u32_e32 v9, vcc, 0, v10, vcc
	v_add_co_u32_e32 v4, vcc, v4, v8
	v_addc_co_u32_e32 v7, vcc, v7, v9, vcc
	v_mul_lo_u32 v8, s0, v7
	v_mul_hi_u32 v9, s0, v4
	v_mul_lo_u32 v10, s1, v4
	v_mul_lo_u32 v11, s0, v4
	v_add_u32_e32 v8, v9, v8
	v_add_u32_e32 v8, v8, v10
	v_mul_lo_u32 v12, v4, v8
	v_mul_hi_u32 v13, v4, v11
	v_mul_hi_u32 v14, v4, v8
	;; [unrolled: 1-line block ×3, first 2 shown]
	v_mul_lo_u32 v11, v7, v11
	v_mul_hi_u32 v9, v7, v8
	v_add_co_u32_e32 v12, vcc, v13, v12
	v_addc_co_u32_e32 v13, vcc, 0, v14, vcc
	v_mul_lo_u32 v8, v7, v8
	v_add_co_u32_e32 v11, vcc, v12, v11
	v_addc_co_u32_e32 v10, vcc, v13, v10, vcc
	v_addc_co_u32_e32 v9, vcc, 0, v9, vcc
	v_add_co_u32_e32 v8, vcc, v10, v8
	v_addc_co_u32_e32 v9, vcc, 0, v9, vcc
	v_add_co_u32_e32 v4, vcc, v4, v8
	v_addc_co_u32_e32 v9, vcc, v7, v9, vcc
	v_mad_u64_u32 v[7:8], s[0:1], v5, v9, 0
	v_mul_hi_u32 v10, v5, v4
	v_add_co_u32_e32 v11, vcc, v10, v7
	v_addc_co_u32_e32 v12, vcc, 0, v8, vcc
	v_mad_u64_u32 v[7:8], s[0:1], v6, v4, 0
	v_mad_u64_u32 v[9:10], s[0:1], v6, v9, 0
	v_add_co_u32_e32 v4, vcc, v11, v7
	v_addc_co_u32_e32 v4, vcc, v12, v8, vcc
	v_addc_co_u32_e32 v7, vcc, 0, v10, vcc
	v_add_co_u32_e32 v4, vcc, v4, v9
	v_addc_co_u32_e32 v9, vcc, 0, v7, vcc
	v_mul_lo_u32 v10, s19, v4
	v_mul_lo_u32 v11, s18, v9
	v_mad_u64_u32 v[7:8], s[0:1], s18, v4, 0
	v_add3_u32 v8, v8, v11, v10
	v_sub_u32_e32 v10, v6, v8
	v_mov_b32_e32 v11, s19
	v_sub_co_u32_e32 v7, vcc, v5, v7
	v_subb_co_u32_e64 v10, s[0:1], v10, v11, vcc
	v_subrev_co_u32_e64 v11, s[0:1], s18, v7
	v_subbrev_co_u32_e64 v10, s[0:1], 0, v10, s[0:1]
	v_cmp_le_u32_e64 s[0:1], s19, v10
	v_cndmask_b32_e64 v12, 0, -1, s[0:1]
	v_cmp_le_u32_e64 s[0:1], s18, v11
	v_cndmask_b32_e64 v11, 0, -1, s[0:1]
	v_cmp_eq_u32_e64 s[0:1], s19, v10
	v_cndmask_b32_e64 v10, v12, v11, s[0:1]
	v_add_co_u32_e64 v11, s[0:1], 2, v4
	v_addc_co_u32_e64 v12, s[0:1], 0, v9, s[0:1]
	v_add_co_u32_e64 v13, s[0:1], 1, v4
	v_addc_co_u32_e64 v14, s[0:1], 0, v9, s[0:1]
	v_subb_co_u32_e32 v8, vcc, v6, v8, vcc
	v_cmp_ne_u32_e64 s[0:1], 0, v10
	v_cmp_le_u32_e32 vcc, s19, v8
	v_cndmask_b32_e64 v10, v14, v12, s[0:1]
	v_cndmask_b32_e64 v12, 0, -1, vcc
	v_cmp_le_u32_e32 vcc, s18, v7
	v_cndmask_b32_e64 v7, 0, -1, vcc
	v_cmp_eq_u32_e32 vcc, s19, v8
	v_cndmask_b32_e32 v7, v12, v7, vcc
	v_cmp_ne_u32_e32 vcc, 0, v7
	v_cndmask_b32_e64 v7, v13, v11, s[0:1]
	v_cndmask_b32_e32 v8, v9, v10, vcc
	v_cndmask_b32_e32 v7, v4, v7, vcc
.LBB0_4:                                ;   in Loop: Header=BB0_2 Depth=1
	s_andn2_saveexec_b64 s[0:1], s[20:21]
	s_cbranch_execz .LBB0_6
; %bb.5:                                ;   in Loop: Header=BB0_2 Depth=1
	v_cvt_f32_u32_e32 v4, s18
	s_sub_i32 s20, 0, s18
	v_rcp_iflag_f32_e32 v4, v4
	v_mul_f32_e32 v4, 0x4f7ffffe, v4
	v_cvt_u32_f32_e32 v4, v4
	v_mul_lo_u32 v7, s20, v4
	v_mul_hi_u32 v7, v4, v7
	v_add_u32_e32 v4, v4, v7
	v_mul_hi_u32 v4, v5, v4
	v_mul_lo_u32 v7, v4, s18
	v_add_u32_e32 v8, 1, v4
	v_sub_u32_e32 v7, v5, v7
	v_subrev_u32_e32 v9, s18, v7
	v_cmp_le_u32_e32 vcc, s18, v7
	v_cndmask_b32_e32 v7, v7, v9, vcc
	v_cndmask_b32_e32 v4, v4, v8, vcc
	v_add_u32_e32 v8, 1, v4
	v_cmp_le_u32_e32 vcc, s18, v7
	v_cndmask_b32_e32 v7, v4, v8, vcc
	v_mov_b32_e32 v8, v3
.LBB0_6:                                ;   in Loop: Header=BB0_2 Depth=1
	s_or_b64 exec, exec, s[0:1]
	v_mul_lo_u32 v4, v8, s18
	v_mul_lo_u32 v11, v7, s19
	v_mad_u64_u32 v[9:10], s[0:1], v7, s18, 0
	s_load_dwordx2 s[0:1], s[6:7], 0x0
	s_add_u32 s14, s14, 1
	v_add3_u32 v4, v10, v11, v4
	v_sub_co_u32_e32 v5, vcc, v5, v9
	v_subb_co_u32_e32 v4, vcc, v6, v4, vcc
	s_waitcnt lgkmcnt(0)
	v_mul_lo_u32 v4, s0, v4
	v_mul_lo_u32 v6, s1, v5
	v_mad_u64_u32 v[1:2], s[0:1], s0, v5, v[1:2]
	s_addc_u32 s15, s15, 0
	s_add_u32 s6, s6, 8
	v_add3_u32 v2, v6, v2, v4
	v_mov_b32_e32 v4, s10
	v_mov_b32_e32 v5, s11
	s_addc_u32 s7, s7, 0
	v_cmp_ge_u64_e32 vcc, s[14:15], v[4:5]
	s_add_u32 s16, s16, 8
	s_addc_u32 s17, s17, 0
	s_cbranch_vccnz .LBB0_8
; %bb.7:                                ;   in Loop: Header=BB0_2 Depth=1
	v_mov_b32_e32 v5, v7
	v_mov_b32_e32 v6, v8
	s_branch .LBB0_2
.LBB0_8:
	s_lshl_b64 s[0:1], s[10:11], 3
	s_add_u32 s0, s12, s0
	s_addc_u32 s1, s13, s1
	s_load_dwordx2 s[6:7], s[0:1], 0x0
	s_load_dwordx2 s[10:11], s[4:5], 0x20
                                        ; implicit-def: $vgpr34_vgpr35
                                        ; implicit-def: $vgpr38_vgpr39
                                        ; implicit-def: $vgpr22_vgpr23
                                        ; implicit-def: $vgpr14_vgpr15
                                        ; implicit-def: $vgpr18_vgpr19
                                        ; implicit-def: $vgpr30_vgpr31
                                        ; implicit-def: $vgpr46_vgpr47
                                        ; implicit-def: $vgpr42_vgpr43
                                        ; implicit-def: $vgpr26_vgpr27
                                        ; implicit-def: $vgpr10_vgpr11
	s_waitcnt lgkmcnt(0)
	v_mad_u64_u32 v[1:2], s[0:1], s6, v7, v[1:2]
	v_mul_lo_u32 v3, s6, v8
	v_mul_lo_u32 v4, s7, v7
	s_mov_b32 s0, 0x13b13b14
	v_mul_hi_u32 v5, v0, s0
	v_cmp_gt_u64_e32 vcc, s[10:11], v[7:8]
	v_add3_u32 v2, v4, v2, v3
	v_lshlrev_b64 v[54:55], 4, v[1:2]
	v_mul_u32_u24_e32 v3, 13, v5
	v_sub_u32_e32 v52, v0, v3
                                        ; implicit-def: $vgpr6_vgpr7
                                        ; implicit-def: $vgpr2_vgpr3
	s_and_saveexec_b64 s[4:5], vcc
	s_cbranch_execz .LBB0_10
; %bb.9:
	v_mov_b32_e32 v53, 0
	v_mov_b32_e32 v0, s3
	v_add_co_u32_e64 v2, s[0:1], s2, v54
	v_addc_co_u32_e64 v3, s[0:1], v0, v55, s[0:1]
	v_lshlrev_b64 v[0:1], 4, v[52:53]
	v_add_co_u32_e64 v49, s[0:1], v2, v0
	v_addc_co_u32_e64 v50, s[0:1], v3, v1, s[0:1]
	global_load_dwordx4 v[0:3], v[49:50], off
	global_load_dwordx4 v[8:11], v[49:50], off offset:208
	global_load_dwordx4 v[32:35], v[49:50], off offset:832
	;; [unrolled: 1-line block ×11, first 2 shown]
.LBB0_10:
	s_or_b64 exec, exec, s[4:5]
	s_waitcnt vmcnt(9)
	v_add_f64 v[49:50], v[32:33], v[0:1]
	v_add_f64 v[56:57], v[34:35], v[2:3]
	s_waitcnt vmcnt(8)
	v_add_f64 v[62:63], v[24:25], v[8:9]
	v_add_f64 v[64:65], v[26:27], v[10:11]
	s_waitcnt vmcnt(7)
	v_add_f64 v[58:59], v[32:33], v[36:37]
	v_add_f64 v[60:61], v[34:35], -v[38:39]
	v_add_f64 v[66:67], v[34:35], v[38:39]
	v_add_f64 v[68:69], v[32:33], -v[36:37]
	v_add_f64 v[32:33], v[36:37], v[49:50]
	v_add_f64 v[34:35], v[38:39], v[56:57]
	s_waitcnt vmcnt(3)
	v_add_f64 v[49:50], v[4:5], v[40:41]
	v_add_f64 v[56:57], v[6:7], v[42:43]
	;; [unrolled: 1-line block ×5, first 2 shown]
	v_add_f64 v[64:65], v[26:27], -v[22:23]
	v_add_f64 v[26:27], v[22:23], v[26:27]
	v_add_f64 v[70:71], v[24:25], -v[20:21]
	s_waitcnt vmcnt(1)
	v_add_f64 v[20:21], v[44:45], v[49:50]
	v_add_f64 v[22:23], v[46:47], v[56:57]
	;; [unrolled: 1-line block ×3, first 2 shown]
	v_add_f64 v[56:57], v[42:43], -v[46:47]
	v_add_f64 v[46:47], v[46:47], v[42:43]
	v_fma_f64 v[24:25], v[58:59], -0.5, v[0:1]
	v_add_f64 v[44:45], v[40:41], -v[44:45]
	v_fma_f64 v[40:41], v[66:67], -0.5, v[2:3]
	v_fma_f64 v[42:43], v[62:63], -0.5, v[8:9]
	;; [unrolled: 1-line block ×3, first 2 shown]
	s_mov_b32 s6, 0x38e38e39
	s_mov_b32 s0, 0xe8584caa
	;; [unrolled: 1-line block ×5, first 2 shown]
	v_mul_hi_u32 v51, v48, s6
	v_fma_f64 v[0:1], v[60:61], s[0:1], v[24:25]
	v_fma_f64 v[8:9], v[60:61], s[4:5], v[24:25]
	;; [unrolled: 1-line block ×8, first 2 shown]
	s_waitcnt vmcnt(0)
	v_add_f64 v[58:59], v[16:17], v[28:29]
	v_add_f64 v[60:61], v[18:19], v[30:31]
	v_lshrrev_b32_e32 v51, 1, v51
	v_lshl_add_u32 v51, v51, 3, v51
	v_sub_u32_e32 v48, v48, v51
	v_mul_u32_u24_e32 v53, 0x9c, v48
	v_fma_f64 v[48:49], v[49:50], -0.5, v[4:5]
	v_fma_f64 v[46:47], v[46:47], -0.5, v[6:7]
	v_add_f64 v[50:51], v[12:13], v[16:17]
	v_fma_f64 v[58:59], v[58:59], -0.5, v[12:13]
	v_add_f64 v[62:63], v[18:19], -v[30:31]
	v_fma_f64 v[60:61], v[60:61], -0.5, v[14:15]
	v_add_f64 v[64:65], v[16:17], -v[28:29]
	v_add_f64 v[18:19], v[14:15], v[18:19]
	v_fma_f64 v[4:5], v[56:57], s[0:1], v[48:49]
	v_fma_f64 v[12:13], v[56:57], s[4:5], v[48:49]
	v_lshlrev_b32_e32 v49, 4, v53
	v_add_u32_e32 v48, 0, v49
	v_fma_f64 v[6:7], v[44:45], s[4:5], v[46:47]
	v_fma_f64 v[14:15], v[44:45], s[0:1], v[46:47]
	v_add_f64 v[16:17], v[50:51], v[28:29]
	v_fma_f64 v[28:29], v[62:63], s[0:1], v[58:59]
	v_fma_f64 v[46:47], v[64:65], s[0:1], v[60:61]
	v_mad_u32_u24 v50, v52, 48, v48
	s_movk_i32 s0, 0xab
	v_fma_f64 v[44:45], v[62:63], s[4:5], v[58:59]
	v_add_f64 v[18:19], v[18:19], v[30:31]
	v_fma_f64 v[30:31], v[64:65], s[4:5], v[60:61]
	ds_write_b128 v50, v[32:35]
	ds_write_b128 v50, v[0:3] offset:16
	ds_write_b128 v50, v[8:11] offset:32
	;; [unrolled: 1-line block ×9, first 2 shown]
	ds_write2_b64 v50, v[28:29], v[30:31] offset0:236 offset1:237
	ds_write2_b64 v50, v[44:45], v[46:47] offset0:238 offset1:239
	v_mul_lo_u16_sdwa v0, v52, s0 dst_sel:DWORD dst_unused:UNUSED_PAD src0_sel:BYTE_0 src1_sel:DWORD
	v_lshrrev_b16_e32 v80, 9, v0
	v_mul_lo_u16_e32 v0, 3, v80
	v_sub_u16_e32 v81, v52, v0
	v_mul_lo_u16_e32 v0, 3, v81
	v_mov_b32_e32 v12, 4
	v_lshlrev_b32_sdwa v8, v12, v0 dst_sel:DWORD dst_unused:UNUSED_PAD src0_sel:DWORD src1_sel:BYTE_0
	s_waitcnt lgkmcnt(0)
	s_barrier
	global_load_dwordx4 v[0:3], v8, s[8:9]
	global_load_dwordx4 v[4:7], v8, s[8:9] offset:16
	v_add_u16_e32 v9, 13, v52
	v_mul_lo_u16_sdwa v10, v9, s0 dst_sel:DWORD dst_unused:UNUSED_PAD src0_sel:BYTE_0 src1_sel:DWORD
	v_lshrrev_b16_e32 v82, 9, v10
	v_mul_lo_u16_e32 v10, 3, v82
	v_sub_u16_e32 v83, v9, v10
	global_load_dwordx4 v[8:11], v8, s[8:9] offset:32
	v_mul_lo_u16_e32 v13, 3, v83
	v_lshlrev_b32_sdwa v24, v12, v13 dst_sel:DWORD dst_unused:UNUSED_PAD src0_sel:DWORD src1_sel:BYTE_0
	global_load_dwordx4 v[12:15], v24, s[8:9]
	global_load_dwordx4 v[16:19], v24, s[8:9] offset:16
	global_load_dwordx4 v[20:23], v24, s[8:9] offset:32
	v_add_u16_e32 v24, 26, v52
	v_mul_lo_u16_sdwa v25, v24, s0 dst_sel:DWORD dst_unused:UNUSED_PAD src0_sel:BYTE_0 src1_sel:DWORD
	v_lshrrev_b16_e32 v84, 9, v25
	v_mul_lo_u16_e32 v25, 3, v84
	v_sub_u16_e32 v85, v24, v25
	v_mov_b32_e32 v24, 3
	v_mul_u32_u24_sdwa v24, v85, v24 dst_sel:DWORD dst_unused:UNUSED_PAD src0_sel:BYTE_0 src1_sel:DWORD
	v_lshlrev_b32_e32 v36, 4, v24
	global_load_dwordx4 v[24:27], v36, s[8:9]
	global_load_dwordx4 v[28:31], v36, s[8:9] offset:16
	global_load_dwordx4 v[32:35], v36, s[8:9] offset:32
	v_lshlrev_b32_e32 v53, 4, v52
	v_add3_u32 v49, 0, v53, v49
	ds_read_b128 v[36:39], v49 offset:624
	ds_read_b128 v[40:43], v49 offset:416
	;; [unrolled: 1-line block ×7, first 2 shown]
	v_add_u32_e32 v53, v48, v53
	ds_read_b128 v[72:75], v49 offset:1040
	v_cmp_gt_u32_e64 s[0:1], 12, v52
	s_waitcnt vmcnt(8) lgkmcnt(7)
	v_mul_f64 v[50:51], v[38:39], v[2:3]
	v_mul_f64 v[2:3], v[36:37], v[2:3]
	s_waitcnt vmcnt(7) lgkmcnt(5)
	v_mul_f64 v[76:77], v[46:47], v[6:7]
	v_mul_f64 v[6:7], v[44:45], v[6:7]
	v_fma_f64 v[36:37], v[36:37], v[0:1], v[50:51]
	s_waitcnt vmcnt(6) lgkmcnt(3)
	v_mul_f64 v[50:51], v[62:63], v[10:11]
	v_mul_f64 v[10:11], v[60:61], v[10:11]
	s_waitcnt vmcnt(5) lgkmcnt(2)
	v_mul_f64 v[78:79], v[66:67], v[14:15]
	v_mul_f64 v[14:15], v[64:65], v[14:15]
	v_fma_f64 v[38:39], v[38:39], v[0:1], -v[2:3]
	v_fma_f64 v[44:45], v[44:45], v[4:5], v[76:77]
	s_waitcnt vmcnt(4)
	v_mul_f64 v[76:77], v[58:59], v[18:19]
	v_fma_f64 v[46:47], v[46:47], v[4:5], -v[6:7]
	v_fma_f64 v[50:51], v[60:61], v[8:9], v[50:51]
	v_fma_f64 v[60:61], v[62:63], v[8:9], -v[10:11]
	v_fma_f64 v[62:63], v[64:65], v[12:13], v[78:79]
	v_fma_f64 v[64:65], v[66:67], v[12:13], -v[14:15]
	v_mul_f64 v[12:13], v[56:57], v[18:19]
	ds_read_b128 v[0:3], v49 offset:2080
	ds_read_b128 v[8:11], v49 offset:2288
	ds_read_b128 v[4:7], v53
	v_fma_f64 v[18:19], v[56:57], v[16:17], v[76:77]
	v_add_f64 v[50:51], v[36:37], -v[50:51]
	s_waitcnt vmcnt(3) lgkmcnt(2)
	v_mul_f64 v[56:57], v[2:3], v[22:23]
	v_mul_f64 v[22:23], v[0:1], v[22:23]
	v_fma_f64 v[16:17], v[58:59], v[16:17], -v[12:13]
	s_waitcnt lgkmcnt(0)
	v_add_f64 v[44:45], v[4:5], -v[44:45]
	v_add_f64 v[46:47], v[6:7], -v[46:47]
	;; [unrolled: 1-line block ×3, first 2 shown]
	ds_read_b128 v[12:15], v49 offset:208
	s_waitcnt lgkmcnt(0)
	v_fma_f64 v[56:57], v[0:1], v[20:21], v[56:57]
	v_fma_f64 v[20:21], v[2:3], v[20:21], -v[22:23]
	s_waitcnt vmcnt(2)
	v_mul_f64 v[0:1], v[74:75], v[26:27]
	v_mul_f64 v[2:3], v[72:73], v[26:27]
	v_fma_f64 v[22:23], v[4:5], 2.0, -v[44:45]
	v_fma_f64 v[26:27], v[6:7], 2.0, -v[46:47]
	;; [unrolled: 1-line block ×4, first 2 shown]
	s_waitcnt vmcnt(1)
	v_mul_f64 v[36:37], v[70:71], v[30:31]
	v_mul_f64 v[30:31], v[68:69], v[30:31]
	s_waitcnt vmcnt(0)
	v_mul_f64 v[38:39], v[10:11], v[34:35]
	v_mul_f64 v[34:35], v[8:9], v[34:35]
	v_fma_f64 v[60:61], v[72:73], v[24:25], v[0:1]
	v_fma_f64 v[24:25], v[74:75], v[24:25], -v[2:3]
	v_add_f64 v[4:5], v[22:23], -v[4:5]
	v_add_f64 v[6:7], v[26:27], -v[6:7]
	v_fma_f64 v[36:37], v[68:69], v[28:29], v[36:37]
	v_fma_f64 v[28:29], v[70:71], v[28:29], -v[30:31]
	v_fma_f64 v[30:31], v[8:9], v[32:33], v[38:39]
	v_fma_f64 v[32:33], v[10:11], v[32:33], -v[34:35]
	v_add_f64 v[8:9], v[44:45], v[58:59]
	v_add_f64 v[10:11], v[46:47], -v[50:51]
	v_add_f64 v[34:35], v[14:15], -v[16:17]
	v_fma_f64 v[2:3], v[26:27], 2.0, -v[6:7]
	v_add_f64 v[26:27], v[12:13], -v[18:19]
	v_add_f64 v[16:17], v[62:63], -v[56:57]
	;; [unrolled: 1-line block ×7, first 2 shown]
	v_fma_f64 v[0:1], v[22:23], 2.0, -v[4:5]
	v_fma_f64 v[66:67], v[12:13], 2.0, -v[26:27]
	;; [unrolled: 1-line block ×10, first 2 shown]
	v_add_f64 v[44:45], v[50:51], v[32:33]
	v_add_f64 v[20:21], v[66:67], -v[20:21]
	v_add_f64 v[22:23], v[68:69], -v[22:23]
	v_add_f64 v[28:29], v[26:27], v[18:19]
	v_add_f64 v[36:37], v[40:41], -v[36:37]
	v_add_f64 v[30:31], v[34:35], -v[16:17]
	v_fma_f64 v[14:15], v[46:47], 2.0, -v[10:11]
	v_add_f64 v[38:39], v[42:43], -v[24:25]
	v_add_f64 v[46:47], v[56:57], -v[58:59]
	v_fma_f64 v[16:17], v[66:67], 2.0, -v[20:21]
	v_fma_f64 v[18:19], v[68:69], 2.0, -v[22:23]
	;; [unrolled: 1-line block ×5, first 2 shown]
	v_mul_lo_u16_e32 v50, 12, v80
	v_fma_f64 v[26:27], v[34:35], 2.0, -v[30:31]
	v_or_b32_e32 v50, v50, v81
	v_and_b32_e32 v50, 0xff, v50
	v_fma_f64 v[34:35], v[42:43], 2.0, -v[38:39]
	v_fma_f64 v[42:43], v[56:57], 2.0, -v[46:47]
	v_lshl_add_u32 v50, v50, 4, v48
	s_barrier
	ds_write_b128 v50, v[0:3]
	ds_write_b128 v50, v[12:15] offset:48
	ds_write_b128 v50, v[4:7] offset:96
	ds_write_b128 v50, v[8:11] offset:144
	v_mul_lo_u16_e32 v50, 12, v82
	v_or_b32_e32 v50, v50, v83
	v_and_b32_e32 v50, 0xff, v50
	v_lshl_add_u32 v50, v50, 4, v48
	ds_write_b128 v50, v[16:19]
	ds_write_b128 v50, v[24:27] offset:48
	ds_write_b128 v50, v[20:23] offset:96
	ds_write_b128 v50, v[28:31] offset:144
	v_mul_u32_u24_e32 v50, 12, v84
	v_or_b32_sdwa v50, v50, v85 dst_sel:DWORD dst_unused:UNUSED_PAD src0_sel:DWORD src1_sel:BYTE_0
	v_lshl_add_u32 v48, v50, 4, v48
	ds_write_b128 v48, v[32:35]
	ds_write_b128 v48, v[40:43] offset:48
	ds_write_b128 v48, v[36:39] offset:96
	;; [unrolled: 1-line block ×3, first 2 shown]
	s_waitcnt lgkmcnt(0)
	s_barrier
	s_waitcnt lgkmcnt(0)
                                        ; implicit-def: $vgpr50_vgpr51
	s_and_saveexec_b64 s[4:5], s[0:1]
	s_cbranch_execnz .LBB0_13
; %bb.11:
	s_or_b64 exec, exec, s[4:5]
	s_and_b64 s[0:1], vcc, s[0:1]
	s_and_saveexec_b64 s[4:5], s[0:1]
	s_cbranch_execnz .LBB0_14
.LBB0_12:
	s_endpgm
.LBB0_13:
	ds_read_b128 v[0:3], v53
	ds_read_b128 v[12:15], v49 offset:192
	ds_read_b128 v[4:7], v49 offset:384
	ds_read_b128 v[8:11], v49 offset:576
	ds_read_b128 v[16:19], v49 offset:768
	ds_read_b128 v[24:27], v49 offset:960
	ds_read_b128 v[20:23], v49 offset:1152
	ds_read_b128 v[28:31], v49 offset:1344
	ds_read_b128 v[32:35], v49 offset:1536
	ds_read_b128 v[40:43], v49 offset:1728
	ds_read_b128 v[36:39], v49 offset:1920
	ds_read_b128 v[44:47], v49 offset:2112
	ds_read_b128 v[48:51], v49 offset:2304
	s_or_b64 exec, exec, s[4:5]
	s_and_b64 s[0:1], vcc, s[0:1]
	s_and_saveexec_b64 s[4:5], s[0:1]
	s_cbranch_execz .LBB0_12
.LBB0_14:
	v_mul_u32_u24_e32 v53, 12, v52
	v_lshlrev_b32_e32 v53, 4, v53
	global_load_dwordx4 v[56:59], v53, s[8:9] offset:224
	global_load_dwordx4 v[62:65], v53, s[8:9] offset:240
	;; [unrolled: 1-line block ×12, first 2 shown]
	s_mov_b32 s4, 0x4bc48dbf
	s_mov_b32 s5, 0xbfcea1e5
	;; [unrolled: 1-line block ×32, first 2 shown]
	v_mov_b32_e32 v53, 0
	s_waitcnt vmcnt(11) lgkmcnt(6)
	v_mul_f64 v[60:61], v[22:23], v[58:59]
	v_mul_f64 v[58:59], v[20:21], v[58:59]
	s_waitcnt vmcnt(10) lgkmcnt(5)
	v_mul_f64 v[84:85], v[28:29], v[64:65]
	s_waitcnt vmcnt(9)
	v_mul_f64 v[106:107], v[26:27], v[68:69]
	s_waitcnt vmcnt(7)
	v_mul_f64 v[112:113], v[18:19], v[76:77]
	v_mul_f64 v[82:83], v[30:31], v[64:65]
	;; [unrolled: 1-line block ×3, first 2 shown]
	s_waitcnt vmcnt(4)
	v_mul_f64 v[124:125], v[14:15], v[92:93]
	s_waitcnt vmcnt(3) lgkmcnt(0)
	v_mul_f64 v[126:127], v[50:51], v[96:97]
	v_mul_f64 v[114:115], v[42:43], v[80:81]
	;; [unrolled: 1-line block ×5, first 2 shown]
	s_waitcnt vmcnt(2)
	v_mul_f64 v[128:129], v[46:47], v[100:101]
	v_mul_f64 v[96:97], v[48:49], v[96:97]
	v_fma_f64 v[64:65], v[22:23], v[56:57], -v[58:59]
	v_fma_f64 v[58:59], v[30:31], v[62:63], -v[84:85]
	v_fma_f64 v[80:81], v[24:25], v[66:67], v[106:107]
	v_fma_f64 v[84:85], v[16:17], v[74:75], v[112:113]
	;; [unrolled: 1-line block ×4, first 2 shown]
	v_mul_f64 v[122:123], v[4:5], v[88:89]
	v_mul_f64 v[100:101], v[44:45], v[100:101]
	s_waitcnt vmcnt(1)
	v_mul_f64 v[130:131], v[10:11], v[104:105]
	v_mul_f64 v[132:133], v[8:9], v[104:105]
	s_waitcnt vmcnt(0)
	v_mul_f64 v[134:135], v[38:39], v[110:111]
	v_mul_f64 v[110:111], v[36:37], v[110:111]
	v_fma_f64 v[60:61], v[20:21], v[56:57], v[60:61]
	v_fma_f64 v[56:57], v[28:29], v[62:63], v[82:83]
	v_fma_f64 v[82:83], v[26:27], v[66:67], -v[68:69]
	v_fma_f64 v[40:41], v[40:41], v[78:79], v[114:115]
	v_fma_f64 v[104:105], v[4:5], v[86:87], v[120:121]
	v_fma_f64 v[114:115], v[14:15], v[90:91], -v[92:93]
	v_fma_f64 v[28:29], v[44:45], v[98:99], v[128:129]
	v_fma_f64 v[26:27], v[50:51], v[94:95], -v[96:97]
	v_add_f64 v[120:121], v[112:113], -v[24:25]
	v_mul_f64 v[116:117], v[34:35], v[72:73]
	v_mul_f64 v[76:77], v[16:17], v[76:77]
	v_fma_f64 v[42:43], v[42:43], v[78:79], -v[118:119]
	v_fma_f64 v[106:107], v[6:7], v[86:87], -v[122:123]
	;; [unrolled: 1-line block ×3, first 2 shown]
	v_fma_f64 v[96:97], v[8:9], v[102:103], v[130:131]
	v_fma_f64 v[36:37], v[36:37], v[108:109], v[134:135]
	v_fma_f64 v[38:39], v[38:39], v[108:109], -v[110:111]
	v_add_f64 v[110:111], v[104:105], -v[28:29]
	v_add_f64 v[118:119], v[114:115], v[26:27]
	v_add_f64 v[122:123], v[114:115], -v[26:27]
	v_mul_f64 v[4:5], v[120:121], s[4:5]
	v_mul_f64 v[72:73], v[32:33], v[72:73]
	v_fma_f64 v[88:89], v[18:19], v[74:75], -v[76:77]
	v_fma_f64 v[102:103], v[10:11], v[102:103], -v[132:133]
	v_fma_f64 v[46:47], v[32:33], v[70:71], v[116:117]
	v_add_f64 v[76:77], v[106:107], v[30:31]
	v_add_f64 v[116:117], v[112:113], v[24:25]
	v_add_f64 v[98:99], v[106:107], -v[30:31]
	v_add_f64 v[108:109], v[96:97], -v[36:37]
	v_mul_f64 v[6:7], v[122:123], s[4:5]
	v_mul_f64 v[8:9], v[110:111], s[14:15]
	v_fma_f64 v[12:13], v[118:119], s[0:1], v[4:5]
	v_fma_f64 v[50:51], v[34:35], v[70:71], -v[72:73]
	v_add_f64 v[78:79], v[104:105], v[28:29]
	v_add_f64 v[72:73], v[102:103], v[38:39]
	v_add_f64 v[94:95], v[102:103], -v[38:39]
	v_add_f64 v[100:101], v[84:85], -v[40:41]
	v_mul_f64 v[10:11], v[98:99], s[14:15]
	v_mul_f64 v[14:15], v[108:109], s[10:11]
	v_fma_f64 v[20:21], v[116:117], s[0:1], -v[6:7]
	v_fma_f64 v[126:127], v[76:77], s[6:7], v[8:9]
	v_add_f64 v[12:13], v[2:3], v[12:13]
	v_add_f64 v[74:75], v[96:97], v[36:37]
	v_add_f64 v[66:67], v[88:89], v[42:43]
	v_add_f64 v[92:93], v[88:89], -v[42:43]
	v_add_f64 v[90:91], v[80:81], -v[46:47]
	v_mul_f64 v[16:17], v[94:95], s[10:11]
	v_mul_f64 v[18:19], v[100:101], s[26:27]
	v_fma_f64 v[132:133], v[78:79], s[6:7], -v[10:11]
	v_add_f64 v[20:21], v[0:1], v[20:21]
	v_fma_f64 v[138:139], v[72:73], s[8:9], v[14:15]
	v_add_f64 v[12:13], v[126:127], v[12:13]
	v_add_f64 v[68:69], v[84:85], v[40:41]
	;; [unrolled: 1-line block ×3, first 2 shown]
	v_add_f64 v[86:87], v[82:83], -v[50:51]
	v_add_f64 v[70:71], v[60:61], -v[56:57]
	v_mul_f64 v[22:23], v[92:93], s[26:27]
	v_mul_f64 v[124:125], v[90:91], s[20:21]
	v_fma_f64 v[142:143], v[74:75], s[8:9], -v[16:17]
	v_add_f64 v[20:21], v[132:133], v[20:21]
	v_fma_f64 v[132:133], v[66:67], s[12:13], v[18:19]
	v_fma_f64 v[4:5], v[118:119], s[0:1], -v[4:5]
	v_add_f64 v[12:13], v[138:139], v[12:13]
	v_add_f64 v[34:35], v[80:81], v[46:47]
	;; [unrolled: 1-line block ×3, first 2 shown]
	v_add_f64 v[62:63], v[64:65], -v[58:59]
	v_mul_f64 v[128:129], v[86:87], s[20:21]
	v_mul_f64 v[130:131], v[70:71], s[22:23]
	;; [unrolled: 1-line block ×3, first 2 shown]
	v_fma_f64 v[144:145], v[68:69], s[12:13], -v[22:23]
	v_fma_f64 v[138:139], v[48:49], s[16:17], v[124:125]
	v_fma_f64 v[8:9], v[76:77], s[6:7], -v[8:9]
	v_add_f64 v[20:21], v[142:143], v[20:21]
	v_fma_f64 v[6:7], v[116:117], s[0:1], v[6:7]
	v_add_f64 v[4:5], v[2:3], v[4:5]
	v_add_f64 v[12:13], v[132:133], v[12:13]
	;; [unrolled: 1-line block ×3, first 2 shown]
	v_mul_f64 v[134:135], v[62:63], s[22:23]
	v_mul_f64 v[126:127], v[110:111], s[22:23]
	v_fma_f64 v[146:147], v[34:35], s[16:17], -v[128:129]
	v_fma_f64 v[142:143], v[32:33], s[18:19], v[130:131]
	v_fma_f64 v[10:11], v[78:79], s[6:7], v[10:11]
	v_fma_f64 v[14:15], v[72:73], s[8:9], -v[14:15]
	v_add_f64 v[20:21], v[144:145], v[20:21]
	v_add_f64 v[6:7], v[0:1], v[6:7]
	;; [unrolled: 1-line block ×3, first 2 shown]
	v_fma_f64 v[8:9], v[118:119], s[8:9], v[136:137]
	v_add_f64 v[12:13], v[138:139], v[12:13]
	v_mul_f64 v[140:141], v[122:123], s[10:11]
	v_fma_f64 v[132:133], v[44:45], s[18:19], -v[134:135]
	v_fma_f64 v[16:17], v[74:75], s[8:9], v[16:17]
	v_fma_f64 v[18:19], v[66:67], s[12:13], -v[18:19]
	v_fma_f64 v[138:139], v[76:77], s[18:19], v[126:127]
	v_add_f64 v[20:21], v[146:147], v[20:21]
	v_add_f64 v[10:11], v[10:11], v[6:7]
	;; [unrolled: 1-line block ×5, first 2 shown]
	v_mul_f64 v[12:13], v[108:109], s[24:25]
	v_mul_f64 v[142:143], v[94:95], s[24:25]
	v_fma_f64 v[124:125], v[48:49], s[16:17], -v[124:125]
	v_add_f64 v[4:5], v[132:133], v[20:21]
	v_add_f64 v[10:11], v[16:17], v[10:11]
	;; [unrolled: 1-line block ×3, first 2 shown]
	v_fma_f64 v[16:17], v[116:117], s[8:9], -v[140:141]
	v_mul_f64 v[18:19], v[98:99], s[22:23]
	v_fma_f64 v[20:21], v[68:69], s[12:13], v[22:23]
	v_add_f64 v[8:9], v[138:139], v[8:9]
	v_fma_f64 v[22:23], v[72:73], s[12:13], v[12:13]
	v_mul_f64 v[132:133], v[100:101], s[34:35]
	v_mul_f64 v[144:145], v[92:93], s[34:35]
	v_add_f64 v[14:15], v[124:125], v[14:15]
	v_add_f64 v[16:17], v[0:1], v[16:17]
	v_fma_f64 v[138:139], v[78:79], s[18:19], -v[18:19]
	v_add_f64 v[10:11], v[20:21], v[10:11]
	v_fma_f64 v[20:21], v[34:35], s[16:17], v[128:129]
	v_add_f64 v[8:9], v[22:23], v[8:9]
	v_fma_f64 v[22:23], v[66:67], s[0:1], v[132:133]
	v_mul_f64 v[128:129], v[90:91], s[14:15]
	v_fma_f64 v[124:125], v[118:119], s[8:9], -v[136:137]
	v_mul_f64 v[136:137], v[86:87], s[14:15]
	v_add_f64 v[16:17], v[138:139], v[16:17]
	v_fma_f64 v[138:139], v[74:75], s[12:13], -v[142:143]
	v_add_f64 v[10:11], v[20:21], v[10:11]
	v_fma_f64 v[20:21], v[32:33], s[18:19], -v[130:131]
	v_add_f64 v[8:9], v[22:23], v[8:9]
	v_fma_f64 v[22:23], v[48:49], s[6:7], v[128:129]
	v_fma_f64 v[130:131], v[68:69], s[0:1], -v[144:145]
	v_fma_f64 v[126:127], v[76:77], s[18:19], -v[126:127]
	v_add_f64 v[124:125], v[2:3], v[124:125]
	v_add_f64 v[16:17], v[138:139], v[16:17]
	v_mul_f64 v[138:139], v[70:71], s[20:21]
	v_fma_f64 v[134:135], v[44:45], s[18:19], v[134:135]
	v_mul_f64 v[146:147], v[62:63], s[20:21]
	v_add_f64 v[8:9], v[22:23], v[8:9]
	v_fma_f64 v[22:23], v[116:117], s[8:9], v[140:141]
	v_fma_f64 v[18:19], v[78:79], s[18:19], v[18:19]
	v_add_f64 v[124:125], v[126:127], v[124:125]
	v_add_f64 v[16:17], v[130:131], v[16:17]
	v_fma_f64 v[130:131], v[34:35], s[6:7], -v[136:137]
	v_fma_f64 v[140:141], v[32:33], s[16:17], v[138:139]
	v_fma_f64 v[126:127], v[72:73], s[12:13], -v[12:13]
	v_add_f64 v[14:15], v[20:21], v[14:15]
	v_add_f64 v[22:23], v[0:1], v[22:23]
	v_mul_f64 v[20:21], v[120:121], s[20:21]
	v_add_f64 v[12:13], v[134:135], v[10:11]
	v_mul_f64 v[134:135], v[110:111], s[30:31]
	v_add_f64 v[16:17], v[130:131], v[16:17]
	v_add_f64 v[10:11], v[140:141], v[8:9]
	v_fma_f64 v[8:9], v[44:45], s[16:17], -v[146:147]
	v_add_f64 v[124:125], v[126:127], v[124:125]
	v_add_f64 v[18:19], v[18:19], v[22:23]
	v_fma_f64 v[22:23], v[74:75], s[12:13], v[142:143]
	v_fma_f64 v[126:127], v[66:67], s[0:1], -v[132:133]
	v_mul_f64 v[130:131], v[122:123], s[20:21]
	v_fma_f64 v[132:133], v[118:119], s[16:17], v[20:21]
	v_mul_f64 v[140:141], v[98:99], s[30:31]
	v_add_f64 v[8:9], v[8:9], v[16:17]
	v_mul_f64 v[142:143], v[108:109], s[14:15]
	v_fma_f64 v[128:129], v[48:49], s[6:7], -v[128:129]
	v_add_f64 v[16:17], v[22:23], v[18:19]
	v_fma_f64 v[18:19], v[68:69], s[0:1], v[144:145]
	v_fma_f64 v[22:23], v[116:117], s[16:17], -v[130:131]
	v_add_f64 v[124:125], v[126:127], v[124:125]
	v_add_f64 v[126:127], v[2:3], v[132:133]
	v_fma_f64 v[132:133], v[76:77], s[8:9], v[134:135]
	v_mul_f64 v[144:145], v[94:95], s[14:15]
	v_mul_f64 v[148:149], v[100:101], s[28:29]
	v_fma_f64 v[136:137], v[34:35], s[6:7], v[136:137]
	v_add_f64 v[16:17], v[18:19], v[16:17]
	v_add_f64 v[18:19], v[0:1], v[22:23]
	v_fma_f64 v[22:23], v[78:79], s[8:9], -v[140:141]
	v_mul_f64 v[150:151], v[92:93], s[28:29]
	v_add_f64 v[126:127], v[132:133], v[126:127]
	v_fma_f64 v[132:133], v[72:73], s[6:7], v[142:143]
	v_add_f64 v[124:125], v[128:129], v[124:125]
	v_fma_f64 v[128:129], v[32:33], s[16:17], -v[138:139]
	v_add_f64 v[16:17], v[136:137], v[16:17]
	v_mul_f64 v[136:137], v[90:91], s[34:35]
	v_add_f64 v[18:19], v[22:23], v[18:19]
	v_fma_f64 v[22:23], v[74:75], s[6:7], -v[144:145]
	v_fma_f64 v[138:139], v[68:69], s[18:19], -v[150:151]
	v_add_f64 v[126:127], v[132:133], v[126:127]
	v_fma_f64 v[132:133], v[66:67], s[18:19], v[148:149]
	v_fma_f64 v[20:21], v[118:119], s[16:17], -v[20:21]
	v_mul_f64 v[152:153], v[86:87], s[34:35]
	v_fma_f64 v[134:135], v[76:77], s[8:9], -v[134:135]
	v_fma_f64 v[146:147], v[44:45], s[16:17], v[146:147]
	v_add_f64 v[22:23], v[22:23], v[18:19]
	v_add_f64 v[18:19], v[128:129], v[124:125]
	v_fma_f64 v[128:129], v[48:49], s[0:1], v[136:137]
	v_add_f64 v[124:125], v[132:133], v[126:127]
	v_fma_f64 v[126:127], v[116:117], s[16:17], v[130:131]
	v_mul_f64 v[130:131], v[70:71], s[26:27]
	v_add_f64 v[20:21], v[2:3], v[20:21]
	v_fma_f64 v[132:133], v[34:35], s[0:1], -v[152:153]
	v_add_f64 v[22:23], v[138:139], v[22:23]
	v_fma_f64 v[138:139], v[78:79], s[8:9], v[140:141]
	v_mul_f64 v[140:141], v[120:121], s[28:29]
	v_add_f64 v[124:125], v[128:129], v[124:125]
	v_add_f64 v[126:127], v[0:1], v[126:127]
	v_fma_f64 v[128:129], v[32:33], s[12:13], v[130:131]
	v_add_f64 v[20:21], v[134:135], v[20:21]
	v_fma_f64 v[134:135], v[72:73], s[6:7], -v[142:143]
	v_mul_f64 v[142:143], v[122:123], s[28:29]
	v_add_f64 v[16:17], v[146:147], v[16:17]
	v_add_f64 v[132:133], v[132:133], v[22:23]
	v_mul_f64 v[146:147], v[98:99], s[4:5]
	v_add_f64 v[126:127], v[138:139], v[126:127]
	v_fma_f64 v[138:139], v[74:75], s[6:7], v[144:145]
	v_add_f64 v[22:23], v[128:129], v[124:125]
	v_fma_f64 v[128:129], v[118:119], s[18:19], v[140:141]
	v_mul_f64 v[144:145], v[110:111], s[4:5]
	v_mul_f64 v[124:125], v[62:63], s[26:27]
	s_mov_b32 s27, 0x3fedeba7
	s_mov_b32 s26, s20
	v_add_f64 v[20:21], v[134:135], v[20:21]
	v_add_f64 v[126:127], v[138:139], v[126:127]
	v_fma_f64 v[138:139], v[116:117], s[18:19], -v[142:143]
	v_fma_f64 v[134:135], v[66:67], s[18:19], -v[148:149]
	v_fma_f64 v[148:149], v[68:69], s[18:19], v[150:151]
	v_add_f64 v[128:129], v[2:3], v[128:129]
	v_fma_f64 v[150:151], v[76:77], s[0:1], v[144:145]
	v_mul_f64 v[154:155], v[108:109], s[26:27]
	v_fma_f64 v[156:157], v[78:79], s[0:1], -v[146:147]
	v_mul_f64 v[158:159], v[94:95], s[26:27]
	v_add_f64 v[138:139], v[0:1], v[138:139]
	v_add_f64 v[20:21], v[134:135], v[20:21]
	v_fma_f64 v[134:135], v[48:49], s[0:1], -v[136:137]
	v_add_f64 v[126:127], v[148:149], v[126:127]
	v_add_f64 v[128:129], v[150:151], v[128:129]
	v_fma_f64 v[136:137], v[72:73], s[16:17], v[154:155]
	v_mul_f64 v[148:149], v[100:101], s[14:15]
	v_fma_f64 v[150:151], v[74:75], s[16:17], -v[158:159]
	v_add_f64 v[138:139], v[156:157], v[138:139]
	v_mul_f64 v[156:157], v[92:93], s[14:15]
	v_fma_f64 v[152:153], v[34:35], s[0:1], v[152:153]
	v_add_f64 v[134:135], v[134:135], v[20:21]
	v_fma_f64 v[160:161], v[44:45], s[12:13], -v[124:125]
	v_add_f64 v[20:21], v[136:137], v[128:129]
	v_fma_f64 v[128:129], v[66:67], s[6:7], v[148:149]
	v_mul_f64 v[136:137], v[90:91], s[24:25]
	v_add_f64 v[138:139], v[150:151], v[138:139]
	v_fma_f64 v[150:151], v[68:69], s[6:7], -v[156:157]
	v_add_f64 v[152:153], v[152:153], v[126:127]
	v_fma_f64 v[126:127], v[32:33], s[12:13], -v[130:131]
	v_fma_f64 v[130:131], v[118:119], s[18:19], -v[140:141]
	v_mul_f64 v[162:163], v[86:87], s[24:25]
	v_add_f64 v[128:129], v[128:129], v[20:21]
	v_fma_f64 v[140:141], v[48:49], s[12:13], v[136:137]
	v_fma_f64 v[124:125], v[44:45], s[12:13], v[124:125]
	v_add_f64 v[138:139], v[150:151], v[138:139]
	v_mul_f64 v[150:151], v[70:71], s[10:11]
	v_add_f64 v[20:21], v[160:161], v[132:133]
	v_fma_f64 v[132:133], v[76:77], s[0:1], -v[144:145]
	v_add_f64 v[130:131], v[2:3], v[130:131]
	v_add_f64 v[126:127], v[126:127], v[134:135]
	v_add_f64 v[128:129], v[140:141], v[128:129]
	v_fma_f64 v[140:141], v[116:117], s[18:19], v[142:143]
	v_mul_f64 v[144:145], v[120:121], s[24:25]
	v_fma_f64 v[134:135], v[32:33], s[8:9], v[150:151]
	v_fma_f64 v[164:165], v[34:35], s[12:13], -v[162:163]
	v_add_f64 v[124:125], v[124:125], v[152:153]
	v_add_f64 v[132:133], v[132:133], v[130:131]
	v_fma_f64 v[152:153], v[72:73], s[16:17], -v[154:155]
	v_mul_f64 v[154:155], v[122:123], s[24:25]
	v_mul_f64 v[160:161], v[110:111], s[20:21]
	v_fma_f64 v[148:149], v[66:67], s[6:7], -v[148:149]
	v_add_f64 v[130:131], v[134:135], v[128:129]
	v_fma_f64 v[128:129], v[78:79], s[0:1], v[146:147]
	v_add_f64 v[134:135], v[0:1], v[140:141]
	v_fma_f64 v[146:147], v[118:119], s[12:13], v[144:145]
	v_add_f64 v[138:139], v[164:165], v[138:139]
	v_add_f64 v[132:133], v[152:153], v[132:133]
	v_fma_f64 v[152:153], v[116:117], s[12:13], -v[154:155]
	v_mul_f64 v[164:165], v[98:99], s[20:21]
	v_mul_f64 v[166:167], v[108:109], s[4:5]
	;; [unrolled: 1-line block ×3, first 2 shown]
	v_add_f64 v[128:129], v[128:129], v[134:135]
	v_fma_f64 v[134:135], v[74:75], s[16:17], v[158:159]
	v_add_f64 v[146:147], v[2:3], v[146:147]
	v_fma_f64 v[158:159], v[76:77], s[16:17], v[160:161]
	v_add_f64 v[152:153], v[0:1], v[152:153]
	v_fma_f64 v[168:169], v[78:79], s[16:17], -v[164:165]
	v_mul_f64 v[142:143], v[62:63], s[10:11]
	v_add_f64 v[132:133], v[148:149], v[132:133]
	v_fma_f64 v[148:149], v[72:73], s[0:1], v[166:167]
	v_add_f64 v[128:129], v[134:135], v[128:129]
	v_fma_f64 v[134:135], v[68:69], s[6:7], v[156:157]
	v_add_f64 v[146:147], v[158:159], v[146:147]
	v_mul_f64 v[156:157], v[100:101], s[30:31]
	v_add_f64 v[152:153], v[168:169], v[152:153]
	v_fma_f64 v[158:159], v[74:75], s[0:1], -v[170:171]
	v_mul_f64 v[168:169], v[92:93], s[30:31]
	v_add_f64 v[114:115], v[2:3], v[114:115]
	v_add_f64 v[112:113], v[0:1], v[112:113]
	v_fma_f64 v[140:141], v[44:45], s[8:9], -v[142:143]
	v_fma_f64 v[136:137], v[48:49], s[12:13], -v[136:137]
	v_add_f64 v[134:135], v[134:135], v[128:129]
	v_fma_f64 v[162:163], v[34:35], s[12:13], v[162:163]
	v_add_f64 v[146:147], v[148:149], v[146:147]
	v_fma_f64 v[148:149], v[66:67], s[8:9], v[156:157]
	v_mul_f64 v[172:173], v[90:91], s[22:23]
	v_add_f64 v[152:153], v[158:159], v[152:153]
	v_fma_f64 v[158:159], v[68:69], s[8:9], -v[168:169]
	v_add_f64 v[106:107], v[106:107], v[114:115]
	v_add_f64 v[104:105], v[104:105], v[112:113]
	;; [unrolled: 1-line block ×6, first 2 shown]
	v_fma_f64 v[138:139], v[48:49], s[18:19], v[172:173]
	v_fma_f64 v[150:151], v[32:33], s[8:9], -v[150:151]
	v_fma_f64 v[140:141], v[118:119], s[12:13], -v[144:145]
	v_add_f64 v[144:145], v[158:159], v[152:153]
	v_mul_f64 v[148:149], v[70:71], s[14:15]
	v_mul_f64 v[152:153], v[62:63], s[14:15]
	s_mov_b32 s15, 0xbfddbe06
	v_add_f64 v[102:103], v[102:103], v[106:107]
	v_add_f64 v[96:97], v[96:97], v[104:105]
	v_mul_f64 v[174:175], v[86:87], s[22:23]
	v_fma_f64 v[142:143], v[44:45], s[8:9], v[142:143]
	v_add_f64 v[138:139], v[138:139], v[134:135]
	v_add_f64 v[134:135], v[150:151], v[132:133]
	v_mul_f64 v[150:151], v[122:123], s[14:15]
	v_mul_f64 v[98:99], v[98:99], s[24:25]
	v_add_f64 v[88:89], v[88:89], v[102:103]
	v_add_f64 v[84:85], v[84:85], v[96:97]
	v_fma_f64 v[146:147], v[34:35], s[18:19], -v[174:175]
	v_add_f64 v[132:133], v[142:143], v[136:137]
	v_mul_f64 v[162:163], v[120:121], s[14:15]
	v_mul_f64 v[94:95], v[94:95], s[28:29]
	v_fma_f64 v[142:143], v[116:117], s[6:7], -v[150:151]
	v_fma_f64 v[96:97], v[78:79], s[12:13], -v[98:99]
	v_add_f64 v[82:83], v[82:83], v[88:89]
	v_add_f64 v[80:81], v[80:81], v[84:85]
	;; [unrolled: 1-line block ×3, first 2 shown]
	v_fma_f64 v[146:147], v[32:33], s[6:7], v[148:149]
	v_fma_f64 v[136:137], v[118:119], s[6:7], v[162:163]
	v_fma_f64 v[118:119], v[118:119], s[6:7], -v[162:163]
	v_add_f64 v[142:143], v[0:1], v[142:143]
	v_mul_f64 v[110:111], v[110:111], s[24:25]
	v_add_f64 v[64:65], v[64:65], v[82:83]
	v_add_f64 v[60:61], v[60:61], v[80:81]
	v_fma_f64 v[88:89], v[74:75], s[18:19], -v[94:95]
	v_add_f64 v[122:123], v[146:147], v[138:139]
	v_fma_f64 v[138:139], v[116:117], s[12:13], v[154:155]
	v_fma_f64 v[116:117], v[116:117], s[6:7], v[150:151]
	v_add_f64 v[84:85], v[96:97], v[142:143]
	v_mul_f64 v[92:93], v[92:93], s[20:21]
	v_add_f64 v[58:59], v[58:59], v[64:65]
	v_add_f64 v[56:57], v[56:57], v[60:61]
	;; [unrolled: 1-line block ×3, first 2 shown]
	v_fma_f64 v[158:159], v[76:77], s[16:17], -v[160:161]
	v_add_f64 v[138:139], v[0:1], v[138:139]
	v_add_f64 v[136:137], v[2:3], v[136:137]
	;; [unrolled: 1-line block ×3, first 2 shown]
	v_fma_f64 v[112:113], v[78:79], s[16:17], v[164:165]
	v_add_f64 v[0:1], v[0:1], v[116:117]
	v_fma_f64 v[114:115], v[76:77], s[12:13], v[110:111]
	v_mul_f64 v[108:109], v[108:109], s[28:29]
	v_add_f64 v[80:81], v[88:89], v[84:85]
	v_fma_f64 v[82:83], v[68:69], s[16:17], -v[92:93]
	v_mul_f64 v[84:85], v[86:87], s[10:11]
	v_fma_f64 v[76:77], v[76:77], s[12:13], -v[110:111]
	v_fma_f64 v[78:79], v[78:79], s[12:13], v[98:99]
	v_add_f64 v[50:51], v[50:51], v[58:59]
	v_add_f64 v[46:47], v[46:47], v[56:57]
	v_fma_f64 v[160:161], v[44:45], s[6:7], -v[152:153]
	v_add_f64 v[140:141], v[158:159], v[140:141]
	v_fma_f64 v[158:159], v[72:73], s[0:1], -v[166:167]
	v_add_f64 v[104:105], v[112:113], v[138:139]
	v_fma_f64 v[106:107], v[74:75], s[0:1], v[170:171]
	v_add_f64 v[112:113], v[114:115], v[136:137]
	v_fma_f64 v[114:115], v[72:73], s[18:19], v[108:109]
	v_mul_f64 v[100:101], v[100:101], s[20:21]
	v_add_f64 v[60:61], v[82:83], v[80:81]
	v_fma_f64 v[64:65], v[34:35], s[8:9], -v[84:85]
	v_fma_f64 v[72:73], v[72:73], s[18:19], -v[108:109]
	v_add_f64 v[2:3], v[76:77], v[2:3]
	v_fma_f64 v[74:75], v[74:75], s[18:19], v[94:95]
	v_add_f64 v[0:1], v[78:79], v[0:1]
	v_add_f64 v[42:43], v[42:43], v[50:51]
	;; [unrolled: 1-line block ×5, first 2 shown]
	v_fma_f64 v[144:145], v[66:67], s[8:9], -v[156:157]
	v_add_f64 v[102:103], v[106:107], v[104:105]
	v_fma_f64 v[104:105], v[68:69], s[8:9], v[168:169]
	v_mul_f64 v[90:91], v[90:91], s[10:11]
	v_add_f64 v[56:57], v[64:65], v[60:61]
	v_fma_f64 v[60:61], v[66:67], s[16:17], -v[100:101]
	v_add_f64 v[2:3], v[72:73], v[2:3]
	v_fma_f64 v[64:65], v[68:69], s[16:17], v[92:93]
	v_add_f64 v[0:1], v[74:75], v[0:1]
	v_add_f64 v[106:107], v[114:115], v[112:113]
	v_fma_f64 v[112:113], v[66:67], s[16:17], v[100:101]
	v_add_f64 v[38:39], v[38:39], v[42:43]
	v_add_f64 v[36:37], v[36:37], v[40:41]
	;; [unrolled: 1-line block ×3, first 2 shown]
	v_fma_f64 v[144:145], v[48:49], s[18:19], -v[172:173]
	v_add_f64 v[96:97], v[104:105], v[102:103]
	v_fma_f64 v[102:103], v[34:35], s[18:19], v[174:175]
	v_fma_f64 v[86:87], v[48:49], s[8:9], v[90:91]
	v_mul_f64 v[58:59], v[70:71], s[4:5]
	v_fma_f64 v[48:49], v[48:49], s[8:9], -v[90:91]
	v_add_f64 v[2:3], v[60:61], v[2:3]
	v_mul_f64 v[60:61], v[62:63], s[4:5]
	v_fma_f64 v[34:35], v[34:35], s[8:9], v[84:85]
	v_add_f64 v[0:1], v[64:65], v[0:1]
	v_add_f64 v[104:105], v[112:113], v[106:107]
	;; [unrolled: 1-line block ×4, first 2 shown]
	v_fma_f64 v[46:47], v[32:33], s[6:7], -v[148:149]
	v_fma_f64 v[50:51], v[32:33], s[0:1], v[58:59]
	v_fma_f64 v[32:33], v[32:33], s[0:1], -v[58:59]
	v_fma_f64 v[40:41], v[44:45], s[6:7], v[152:153]
	v_add_f64 v[42:43], v[48:49], v[2:3]
	v_fma_f64 v[48:49], v[44:45], s[0:1], -v[60:61]
	v_fma_f64 v[44:45], v[44:45], s[0:1], v[60:61]
	v_add_f64 v[58:59], v[34:35], v[0:1]
	v_add_f64 v[116:117], v[144:145], v[140:141]
	;; [unrolled: 1-line block ×7, first 2 shown]
	v_mov_b32_e32 v36, s3
	v_add_f64 v[32:33], v[44:45], v[58:59]
	v_add_f64 v[2:3], v[46:47], v[116:117]
	;; [unrolled: 1-line block ×3, first 2 shown]
	v_add_co_u32_e32 v38, vcc, s2, v54
	v_addc_co_u32_e32 v39, vcc, v36, v55, vcc
	v_lshlrev_b64 v[36:37], 4, v[52:53]
	v_add_f64 v[30:31], v[50:51], v[80:81]
	v_add_co_u32_e32 v36, vcc, v38, v36
	v_addc_co_u32_e32 v37, vcc, v39, v37, vcc
	v_add_f64 v[28:29], v[48:49], v[56:57]
	global_store_dwordx4 v[36:37], v[24:27], off
	global_store_dwordx4 v[36:37], v[32:35], off offset:192
	global_store_dwordx4 v[36:37], v[0:3], off offset:384
	;; [unrolled: 1-line block ×12, first 2 shown]
	s_endpgm
	.section	.rodata,"a",@progbits
	.p2align	6, 0x0
	.amdhsa_kernel fft_rtc_back_len156_factors_3_4_13_wgs_117_tpt_13_dp_ip_CI_unitstride_sbrr_dirReg
		.amdhsa_group_segment_fixed_size 0
		.amdhsa_private_segment_fixed_size 0
		.amdhsa_kernarg_size 88
		.amdhsa_user_sgpr_count 6
		.amdhsa_user_sgpr_private_segment_buffer 1
		.amdhsa_user_sgpr_dispatch_ptr 0
		.amdhsa_user_sgpr_queue_ptr 0
		.amdhsa_user_sgpr_kernarg_segment_ptr 1
		.amdhsa_user_sgpr_dispatch_id 0
		.amdhsa_user_sgpr_flat_scratch_init 0
		.amdhsa_user_sgpr_private_segment_size 0
		.amdhsa_uses_dynamic_stack 0
		.amdhsa_system_sgpr_private_segment_wavefront_offset 0
		.amdhsa_system_sgpr_workgroup_id_x 1
		.amdhsa_system_sgpr_workgroup_id_y 0
		.amdhsa_system_sgpr_workgroup_id_z 0
		.amdhsa_system_sgpr_workgroup_info 0
		.amdhsa_system_vgpr_workitem_id 0
		.amdhsa_next_free_vgpr 176
		.amdhsa_next_free_sgpr 36
		.amdhsa_reserve_vcc 1
		.amdhsa_reserve_flat_scratch 0
		.amdhsa_float_round_mode_32 0
		.amdhsa_float_round_mode_16_64 0
		.amdhsa_float_denorm_mode_32 3
		.amdhsa_float_denorm_mode_16_64 3
		.amdhsa_dx10_clamp 1
		.amdhsa_ieee_mode 1
		.amdhsa_fp16_overflow 0
		.amdhsa_exception_fp_ieee_invalid_op 0
		.amdhsa_exception_fp_denorm_src 0
		.amdhsa_exception_fp_ieee_div_zero 0
		.amdhsa_exception_fp_ieee_overflow 0
		.amdhsa_exception_fp_ieee_underflow 0
		.amdhsa_exception_fp_ieee_inexact 0
		.amdhsa_exception_int_div_zero 0
	.end_amdhsa_kernel
	.text
.Lfunc_end0:
	.size	fft_rtc_back_len156_factors_3_4_13_wgs_117_tpt_13_dp_ip_CI_unitstride_sbrr_dirReg, .Lfunc_end0-fft_rtc_back_len156_factors_3_4_13_wgs_117_tpt_13_dp_ip_CI_unitstride_sbrr_dirReg
                                        ; -- End function
	.section	.AMDGPU.csdata,"",@progbits
; Kernel info:
; codeLenInByte = 7480
; NumSgprs: 40
; NumVgprs: 176
; ScratchSize: 0
; MemoryBound: 1
; FloatMode: 240
; IeeeMode: 1
; LDSByteSize: 0 bytes/workgroup (compile time only)
; SGPRBlocks: 4
; VGPRBlocks: 43
; NumSGPRsForWavesPerEU: 40
; NumVGPRsForWavesPerEU: 176
; Occupancy: 1
; WaveLimiterHint : 1
; COMPUTE_PGM_RSRC2:SCRATCH_EN: 0
; COMPUTE_PGM_RSRC2:USER_SGPR: 6
; COMPUTE_PGM_RSRC2:TRAP_HANDLER: 0
; COMPUTE_PGM_RSRC2:TGID_X_EN: 1
; COMPUTE_PGM_RSRC2:TGID_Y_EN: 0
; COMPUTE_PGM_RSRC2:TGID_Z_EN: 0
; COMPUTE_PGM_RSRC2:TIDIG_COMP_CNT: 0
	.type	__hip_cuid_922383e163f19764,@object ; @__hip_cuid_922383e163f19764
	.section	.bss,"aw",@nobits
	.globl	__hip_cuid_922383e163f19764
__hip_cuid_922383e163f19764:
	.byte	0                               ; 0x0
	.size	__hip_cuid_922383e163f19764, 1

	.ident	"AMD clang version 19.0.0git (https://github.com/RadeonOpenCompute/llvm-project roc-6.4.0 25133 c7fe45cf4b819c5991fe208aaa96edf142730f1d)"
	.section	".note.GNU-stack","",@progbits
	.addrsig
	.addrsig_sym __hip_cuid_922383e163f19764
	.amdgpu_metadata
---
amdhsa.kernels:
  - .args:
      - .actual_access:  read_only
        .address_space:  global
        .offset:         0
        .size:           8
        .value_kind:     global_buffer
      - .offset:         8
        .size:           8
        .value_kind:     by_value
      - .actual_access:  read_only
        .address_space:  global
        .offset:         16
        .size:           8
        .value_kind:     global_buffer
      - .actual_access:  read_only
        .address_space:  global
        .offset:         24
        .size:           8
        .value_kind:     global_buffer
      - .offset:         32
        .size:           8
        .value_kind:     by_value
      - .actual_access:  read_only
        .address_space:  global
        .offset:         40
        .size:           8
        .value_kind:     global_buffer
      - .actual_access:  read_only
        .address_space:  global
        .offset:         48
        .size:           8
        .value_kind:     global_buffer
      - .offset:         56
        .size:           4
        .value_kind:     by_value
      - .actual_access:  read_only
        .address_space:  global
        .offset:         64
        .size:           8
        .value_kind:     global_buffer
      - .actual_access:  read_only
        .address_space:  global
        .offset:         72
        .size:           8
        .value_kind:     global_buffer
      - .address_space:  global
        .offset:         80
        .size:           8
        .value_kind:     global_buffer
    .group_segment_fixed_size: 0
    .kernarg_segment_align: 8
    .kernarg_segment_size: 88
    .language:       OpenCL C
    .language_version:
      - 2
      - 0
    .max_flat_workgroup_size: 117
    .name:           fft_rtc_back_len156_factors_3_4_13_wgs_117_tpt_13_dp_ip_CI_unitstride_sbrr_dirReg
    .private_segment_fixed_size: 0
    .sgpr_count:     40
    .sgpr_spill_count: 0
    .symbol:         fft_rtc_back_len156_factors_3_4_13_wgs_117_tpt_13_dp_ip_CI_unitstride_sbrr_dirReg.kd
    .uniform_work_group_size: 1
    .uses_dynamic_stack: false
    .vgpr_count:     176
    .vgpr_spill_count: 0
    .wavefront_size: 64
amdhsa.target:   amdgcn-amd-amdhsa--gfx906
amdhsa.version:
  - 1
  - 2
...

	.end_amdgpu_metadata
